;; amdgpu-corpus repo=zjin-lcf/HeCBench kind=compiled arch=gfx90a opt=O3
	.text
	.amdgcn_target "amdgcn-amd-amdhsa--gfx90a"
	.amdhsa_code_object_version 6
	.protected	_Z15computeDistancePK15HIP_vector_typeIfLj2EES2_Pfii ; -- Begin function _Z15computeDistancePK15HIP_vector_typeIfLj2EES2_Pfii
	.globl	_Z15computeDistancePK15HIP_vector_typeIfLj2EES2_Pfii
	.p2align	8
	.type	_Z15computeDistancePK15HIP_vector_typeIfLj2EES2_Pfii,@function
_Z15computeDistancePK15HIP_vector_typeIfLj2EES2_Pfii: ; @_Z15computeDistancePK15HIP_vector_typeIfLj2EES2_Pfii
; %bb.0:
	s_load_dword s0, s[4:5], 0x2c
	s_load_dwordx2 s[8:9], s[4:5], 0x18
	s_waitcnt lgkmcnt(0)
	s_and_b32 s0, s0, 0xffff
	s_mul_i32 s6, s6, s0
	v_add_u32_e32 v0, s6, v0
	v_cmp_gt_i32_e32 vcc, s8, v0
	s_and_saveexec_b64 s[0:1], vcc
	s_cbranch_execz .LBB0_9
; %bb.1:
	s_load_dwordx2 s[6:7], s[4:5], 0x10
	s_cmp_lt_i32 s9, 1
	s_cbranch_scc1 .LBB0_4
; %bb.2:
	s_load_dwordx4 s[0:3], s[4:5], 0x0
	v_ashrrev_i32_e32 v1, 31, v0
	v_lshlrev_b64 v[0:1], 3, v[0:1]
	s_waitcnt lgkmcnt(0)
	v_mov_b32_e32 v2, s1
	v_add_co_u32_e32 v0, vcc, s0, v0
	v_addc_co_u32_e32 v1, vcc, v2, v1, vcc
	global_load_dwordx2 v[2:3], v[0:1], off
	v_mov_b32_e32 v0, 0x7f7fffff
.LBB0_3:                                ; =>This Inner Loop Header: Depth=1
	s_load_dwordx2 s[0:1], s[2:3], 0x0
	s_add_i32 s9, s9, -1
	s_add_u32 s2, s2, 8
	s_addc_u32 s3, s3, 0
	s_cmp_eq_u32 s9, 0
	s_waitcnt vmcnt(0) lgkmcnt(0)
	v_pk_add_f32 v[4:5], v[2:3], s[0:1] neg_lo:[0,1] neg_hi:[0,1]
	v_pk_mul_f32 v[4:5], v[4:5], v[4:5]
	v_add_f32_e32 v1, v4, v5
	v_cmp_lt_f32_e32 vcc, v0, v1
	v_cndmask_b32_e32 v0, v1, v0, vcc
	s_cbranch_scc0 .LBB0_3
	s_branch .LBB0_5
.LBB0_4:
	v_mov_b32_e32 v0, 0x7f7fffff
.LBB0_5:
	v_mov_b32_e32 v2, 0
	s_waitcnt lgkmcnt(0)
	global_load_dword v1, v2, s[6:7] glc
	s_brev_b32 s0, 1
	v_cmp_eq_f32_e32 vcc, 0, v0
	s_mov_b64 s[2:3], 0
                                        ; implicit-def: $sgpr4_sgpr5
                                        ; implicit-def: $sgpr10_sgpr11
	s_waitcnt vmcnt(0)
	v_cmp_eq_u32_e64 s[8:9], s0, v1
	s_branch .LBB0_7
.LBB0_6:                                ;   in Loop: Header=BB0_7 Depth=1
	s_or_b64 exec, exec, s[12:13]
	s_and_b64 s[0:1], exec, s[4:5]
	s_or_b64 s[2:3], s[0:1], s[2:3]
	s_andn2_b64 s[0:1], s[8:9], exec
	s_and_b64 s[8:9], s[10:11], exec
	s_or_b64 s[8:9], s[0:1], s[8:9]
	s_andn2_b64 exec, exec, s[2:3]
	s_cbranch_execz .LBB0_9
.LBB0_7:                                ; =>This Inner Loop Header: Depth=1
	v_cmp_lt_f32_e64 s[0:1], v1, v0
	s_and_b64 s[12:13], vcc, s[8:9]
	s_or_b64 s[0:1], s[0:1], s[12:13]
	s_andn2_b64 s[10:11], s[10:11], exec
	s_or_b64 s[4:5], s[4:5], exec
	s_and_saveexec_b64 s[12:13], s[0:1]
	s_cbranch_execz .LBB0_6
; %bb.8:                                ;   in Loop: Header=BB0_7 Depth=1
	global_atomic_cmpswap v3, v2, v[0:1], s[6:7] glc
	s_andn2_b64 s[10:11], s[10:11], exec
	s_andn2_b64 s[4:5], s[4:5], exec
                                        ; implicit-def: $sgpr8_sgpr9
	s_waitcnt vmcnt(0)
	v_cmp_eq_u32_e64 s[0:1], v3, v1
	v_cndmask_b32_e64 v1, v3, v1, s[0:1]
	v_cmp_class_f32_e64 s[14:15], v1, 32
	s_and_b64 s[0:1], s[0:1], exec
	s_and_b64 s[14:15], s[14:15], exec
	s_or_b64 s[4:5], s[4:5], s[0:1]
	s_or_b64 s[10:11], s[10:11], s[14:15]
	v_mov_b32_e32 v1, v3
	s_branch .LBB0_6
.LBB0_9:
	s_endpgm
	.section	.rodata,"a",@progbits
	.p2align	6, 0x0
	.amdhsa_kernel _Z15computeDistancePK15HIP_vector_typeIfLj2EES2_Pfii
		.amdhsa_group_segment_fixed_size 0
		.amdhsa_private_segment_fixed_size 0
		.amdhsa_kernarg_size 288
		.amdhsa_user_sgpr_count 6
		.amdhsa_user_sgpr_private_segment_buffer 1
		.amdhsa_user_sgpr_dispatch_ptr 0
		.amdhsa_user_sgpr_queue_ptr 0
		.amdhsa_user_sgpr_kernarg_segment_ptr 1
		.amdhsa_user_sgpr_dispatch_id 0
		.amdhsa_user_sgpr_flat_scratch_init 0
		.amdhsa_user_sgpr_kernarg_preload_length 0
		.amdhsa_user_sgpr_kernarg_preload_offset 0
		.amdhsa_user_sgpr_private_segment_size 0
		.amdhsa_uses_dynamic_stack 0
		.amdhsa_system_sgpr_private_segment_wavefront_offset 0
		.amdhsa_system_sgpr_workgroup_id_x 1
		.amdhsa_system_sgpr_workgroup_id_y 0
		.amdhsa_system_sgpr_workgroup_id_z 0
		.amdhsa_system_sgpr_workgroup_info 0
		.amdhsa_system_vgpr_workitem_id 0
		.amdhsa_next_free_vgpr 6
		.amdhsa_next_free_sgpr 16
		.amdhsa_accum_offset 8
		.amdhsa_reserve_vcc 1
		.amdhsa_reserve_flat_scratch 0
		.amdhsa_float_round_mode_32 0
		.amdhsa_float_round_mode_16_64 0
		.amdhsa_float_denorm_mode_32 3
		.amdhsa_float_denorm_mode_16_64 3
		.amdhsa_dx10_clamp 1
		.amdhsa_ieee_mode 1
		.amdhsa_fp16_overflow 0
		.amdhsa_tg_split 0
		.amdhsa_exception_fp_ieee_invalid_op 0
		.amdhsa_exception_fp_denorm_src 0
		.amdhsa_exception_fp_ieee_div_zero 0
		.amdhsa_exception_fp_ieee_overflow 0
		.amdhsa_exception_fp_ieee_underflow 0
		.amdhsa_exception_fp_ieee_inexact 0
		.amdhsa_exception_int_div_zero 0
	.end_amdhsa_kernel
	.text
.Lfunc_end0:
	.size	_Z15computeDistancePK15HIP_vector_typeIfLj2EES2_Pfii, .Lfunc_end0-_Z15computeDistancePK15HIP_vector_typeIfLj2EES2_Pfii
                                        ; -- End function
	.section	.AMDGPU.csdata,"",@progbits
; Kernel info:
; codeLenInByte = 368
; NumSgprs: 20
; NumVgprs: 6
; NumAgprs: 0
; TotalNumVgprs: 6
; ScratchSize: 0
; MemoryBound: 0
; FloatMode: 240
; IeeeMode: 1
; LDSByteSize: 0 bytes/workgroup (compile time only)
; SGPRBlocks: 2
; VGPRBlocks: 0
; NumSGPRsForWavesPerEU: 20
; NumVGPRsForWavesPerEU: 6
; AccumOffset: 8
; Occupancy: 8
; WaveLimiterHint : 0
; COMPUTE_PGM_RSRC2:SCRATCH_EN: 0
; COMPUTE_PGM_RSRC2:USER_SGPR: 6
; COMPUTE_PGM_RSRC2:TRAP_HANDLER: 0
; COMPUTE_PGM_RSRC2:TGID_X_EN: 1
; COMPUTE_PGM_RSRC2:TGID_Y_EN: 0
; COMPUTE_PGM_RSRC2:TGID_Z_EN: 0
; COMPUTE_PGM_RSRC2:TIDIG_COMP_CNT: 0
; COMPUTE_PGM_RSRC3_GFX90A:ACCUM_OFFSET: 1
; COMPUTE_PGM_RSRC3_GFX90A:TG_SPLIT: 0
	.text
	.p2alignl 6, 3212836864
	.fill 256, 4, 3212836864
	.type	__hip_cuid_f761edd985a5a900,@object ; @__hip_cuid_f761edd985a5a900
	.section	.bss,"aw",@nobits
	.globl	__hip_cuid_f761edd985a5a900
__hip_cuid_f761edd985a5a900:
	.byte	0                               ; 0x0
	.size	__hip_cuid_f761edd985a5a900, 1

	.ident	"AMD clang version 19.0.0git (https://github.com/RadeonOpenCompute/llvm-project roc-6.4.0 25133 c7fe45cf4b819c5991fe208aaa96edf142730f1d)"
	.section	".note.GNU-stack","",@progbits
	.addrsig
	.addrsig_sym __hip_cuid_f761edd985a5a900
	.amdgpu_metadata
---
amdhsa.kernels:
  - .agpr_count:     0
    .args:
      - .actual_access:  read_only
        .address_space:  global
        .offset:         0
        .size:           8
        .value_kind:     global_buffer
      - .actual_access:  read_only
        .address_space:  global
        .offset:         8
        .size:           8
        .value_kind:     global_buffer
      - .address_space:  global
        .offset:         16
        .size:           8
        .value_kind:     global_buffer
      - .offset:         24
        .size:           4
        .value_kind:     by_value
      - .offset:         28
        .size:           4
        .value_kind:     by_value
      - .offset:         32
        .size:           4
        .value_kind:     hidden_block_count_x
      - .offset:         36
        .size:           4
        .value_kind:     hidden_block_count_y
      - .offset:         40
        .size:           4
        .value_kind:     hidden_block_count_z
      - .offset:         44
        .size:           2
        .value_kind:     hidden_group_size_x
      - .offset:         46
        .size:           2
        .value_kind:     hidden_group_size_y
      - .offset:         48
        .size:           2
        .value_kind:     hidden_group_size_z
      - .offset:         50
        .size:           2
        .value_kind:     hidden_remainder_x
      - .offset:         52
        .size:           2
        .value_kind:     hidden_remainder_y
      - .offset:         54
        .size:           2
        .value_kind:     hidden_remainder_z
      - .offset:         72
        .size:           8
        .value_kind:     hidden_global_offset_x
      - .offset:         80
        .size:           8
        .value_kind:     hidden_global_offset_y
      - .offset:         88
        .size:           8
        .value_kind:     hidden_global_offset_z
      - .offset:         96
        .size:           2
        .value_kind:     hidden_grid_dims
    .group_segment_fixed_size: 0
    .kernarg_segment_align: 8
    .kernarg_segment_size: 288
    .language:       OpenCL C
    .language_version:
      - 2
      - 0
    .max_flat_workgroup_size: 1024
    .name:           _Z15computeDistancePK15HIP_vector_typeIfLj2EES2_Pfii
    .private_segment_fixed_size: 0
    .sgpr_count:     20
    .sgpr_spill_count: 0
    .symbol:         _Z15computeDistancePK15HIP_vector_typeIfLj2EES2_Pfii.kd
    .uniform_work_group_size: 1
    .uses_dynamic_stack: false
    .vgpr_count:     6
    .vgpr_spill_count: 0
    .wavefront_size: 64
amdhsa.target:   amdgcn-amd-amdhsa--gfx90a
amdhsa.version:
  - 1
  - 2
...

	.end_amdgpu_metadata
